;; amdgpu-corpus repo=ROCm/rocFFT kind=compiled arch=gfx950 opt=O3
	.text
	.amdgcn_target "amdgcn-amd-amdhsa--gfx950"
	.amdhsa_code_object_version 6
	.protected	fft_rtc_back_len540_factors_3_10_6_3_wgs_216_tpt_54_halfLds_sp_op_CI_CI_unitstride_sbrr_dirReg ; -- Begin function fft_rtc_back_len540_factors_3_10_6_3_wgs_216_tpt_54_halfLds_sp_op_CI_CI_unitstride_sbrr_dirReg
	.globl	fft_rtc_back_len540_factors_3_10_6_3_wgs_216_tpt_54_halfLds_sp_op_CI_CI_unitstride_sbrr_dirReg
	.p2align	8
	.type	fft_rtc_back_len540_factors_3_10_6_3_wgs_216_tpt_54_halfLds_sp_op_CI_CI_unitstride_sbrr_dirReg,@function
fft_rtc_back_len540_factors_3_10_6_3_wgs_216_tpt_54_halfLds_sp_op_CI_CI_unitstride_sbrr_dirReg: ; @fft_rtc_back_len540_factors_3_10_6_3_wgs_216_tpt_54_halfLds_sp_op_CI_CI_unitstride_sbrr_dirReg
; %bb.0:
	s_load_dwordx4 s[12:15], s[0:1], 0x58
	s_load_dwordx4 s[8:11], s[0:1], 0x0
	;; [unrolled: 1-line block ×3, first 2 shown]
	v_mul_u32_u24_e32 v1, 0x4be, v0
	v_lshrrev_b32_e32 v12, 16, v1
	v_lshl_add_u32 v10, s2, 2, v12
	v_mov_b32_e32 v8, 0
	s_waitcnt lgkmcnt(0)
	v_cmp_lt_u64_e64 s[2:3], s[10:11], 2
	v_mov_b32_e32 v11, v8
	s_and_b64 vcc, exec, s[2:3]
	v_mov_b64_e32 v[6:7], 0
	s_cbranch_vccnz .LBB0_8
; %bb.1:
	s_load_dwordx2 s[2:3], s[0:1], 0x10
	s_add_u32 s16, s6, 8
	s_addc_u32 s17, s7, 0
	s_add_u32 s18, s4, 8
	s_addc_u32 s19, s5, 0
	s_waitcnt lgkmcnt(0)
	s_add_u32 s20, s2, 8
	v_mov_b64_e32 v[6:7], 0
	s_addc_u32 s21, s3, 0
	s_mov_b64 s[22:23], 1
	v_mov_b64_e32 v[2:3], v[6:7]
.LBB0_2:                                ; =>This Inner Loop Header: Depth=1
	s_load_dwordx2 s[24:25], s[20:21], 0x0
                                        ; implicit-def: $vgpr4_vgpr5
	s_waitcnt lgkmcnt(0)
	v_or_b32_e32 v9, s25, v11
	v_cmp_ne_u64_e32 vcc, 0, v[8:9]
	s_and_saveexec_b64 s[2:3], vcc
	s_xor_b64 s[26:27], exec, s[2:3]
	s_cbranch_execz .LBB0_4
; %bb.3:                                ;   in Loop: Header=BB0_2 Depth=1
	v_cvt_f32_u32_e32 v1, s24
	v_cvt_f32_u32_e32 v4, s25
	s_sub_u32 s2, 0, s24
	s_subb_u32 s3, 0, s25
	v_fmac_f32_e32 v1, 0x4f800000, v4
	v_rcp_f32_e32 v1, v1
	s_nop 0
	v_mul_f32_e32 v1, 0x5f7ffffc, v1
	v_mul_f32_e32 v4, 0x2f800000, v1
	v_trunc_f32_e32 v4, v4
	v_fmac_f32_e32 v1, 0xcf800000, v4
	v_cvt_u32_f32_e32 v9, v4
	v_cvt_u32_f32_e32 v1, v1
	v_mul_lo_u32 v4, s2, v9
	v_mul_hi_u32 v13, s2, v1
	v_mul_lo_u32 v5, s3, v1
	v_add_u32_e32 v13, v13, v4
	v_mul_lo_u32 v16, s2, v1
	v_add_u32_e32 v13, v13, v5
	v_mul_hi_u32 v4, v1, v16
	v_mul_hi_u32 v15, v1, v13
	v_mul_lo_u32 v14, v1, v13
	v_mov_b32_e32 v5, v8
	v_lshl_add_u64 v[4:5], v[4:5], 0, v[14:15]
	v_mul_hi_u32 v15, v9, v16
	v_mul_lo_u32 v16, v9, v16
	v_add_co_u32_e32 v4, vcc, v4, v16
	v_mul_hi_u32 v14, v9, v13
	s_nop 0
	v_addc_co_u32_e32 v4, vcc, v5, v15, vcc
	v_mov_b32_e32 v5, v8
	s_nop 0
	v_addc_co_u32_e32 v15, vcc, 0, v14, vcc
	v_mul_lo_u32 v14, v9, v13
	v_lshl_add_u64 v[4:5], v[4:5], 0, v[14:15]
	v_add_co_u32_e32 v1, vcc, v1, v4
	v_mul_lo_u32 v14, s2, v1
	s_nop 0
	v_addc_co_u32_e32 v9, vcc, v9, v5, vcc
	v_mul_lo_u32 v4, s2, v9
	v_mul_hi_u32 v5, s2, v1
	v_add_u32_e32 v4, v5, v4
	v_mul_lo_u32 v5, s3, v1
	v_add_u32_e32 v13, v4, v5
	v_mul_hi_u32 v17, v9, v14
	v_mul_lo_u32 v18, v9, v14
	v_mul_hi_u32 v5, v1, v13
	v_mul_lo_u32 v4, v1, v13
	v_mul_hi_u32 v14, v1, v14
	v_mov_b32_e32 v15, v8
	v_lshl_add_u64 v[4:5], v[14:15], 0, v[4:5]
	v_add_co_u32_e32 v4, vcc, v4, v18
	v_mul_hi_u32 v16, v9, v13
	s_nop 0
	v_addc_co_u32_e32 v4, vcc, v5, v17, vcc
	v_mul_lo_u32 v14, v9, v13
	s_nop 0
	v_addc_co_u32_e32 v15, vcc, 0, v16, vcc
	v_mov_b32_e32 v5, v8
	v_lshl_add_u64 v[4:5], v[4:5], 0, v[14:15]
	v_add_co_u32_e32 v1, vcc, v1, v4
	v_mul_hi_u32 v14, v10, v1
	s_nop 0
	v_addc_co_u32_e32 v9, vcc, v9, v5, vcc
	v_mad_u64_u32 v[4:5], s[2:3], v10, v9, 0
	v_mov_b32_e32 v15, v8
	v_lshl_add_u64 v[4:5], v[14:15], 0, v[4:5]
	v_mad_u64_u32 v[16:17], s[2:3], v11, v1, 0
	v_add_co_u32_e32 v1, vcc, v4, v16
	v_mad_u64_u32 v[14:15], s[2:3], v11, v9, 0
	s_nop 0
	v_addc_co_u32_e32 v4, vcc, v5, v17, vcc
	v_mov_b32_e32 v5, v8
	s_nop 0
	v_addc_co_u32_e32 v15, vcc, 0, v15, vcc
	v_lshl_add_u64 v[4:5], v[4:5], 0, v[14:15]
	v_mul_lo_u32 v1, s25, v4
	v_mul_lo_u32 v9, s24, v5
	v_mad_u64_u32 v[14:15], s[2:3], s24, v4, 0
	v_add3_u32 v1, v15, v9, v1
	v_sub_u32_e32 v9, v11, v1
	v_mov_b32_e32 v13, s25
	v_sub_co_u32_e32 v18, vcc, v10, v14
	v_lshl_add_u64 v[16:17], v[4:5], 0, 1
	s_nop 0
	v_subb_co_u32_e64 v9, s[2:3], v9, v13, vcc
	v_subrev_co_u32_e64 v13, s[2:3], s24, v18
	v_subb_co_u32_e32 v1, vcc, v11, v1, vcc
	s_nop 0
	v_subbrev_co_u32_e64 v9, s[2:3], 0, v9, s[2:3]
	v_cmp_le_u32_e64 s[2:3], s25, v9
	v_cmp_le_u32_e32 vcc, s25, v1
	s_nop 0
	v_cndmask_b32_e64 v14, 0, -1, s[2:3]
	v_cmp_le_u32_e64 s[2:3], s24, v13
	s_nop 1
	v_cndmask_b32_e64 v13, 0, -1, s[2:3]
	v_cmp_eq_u32_e64 s[2:3], s25, v9
	s_nop 1
	v_cndmask_b32_e64 v9, v14, v13, s[2:3]
	v_lshl_add_u64 v[14:15], v[4:5], 0, 2
	v_cmp_ne_u32_e64 s[2:3], 0, v9
	v_cndmask_b32_e64 v13, 0, -1, vcc
	v_cmp_le_u32_e32 vcc, s24, v18
	v_cndmask_b32_e64 v9, v17, v15, s[2:3]
	s_nop 0
	v_cndmask_b32_e64 v15, 0, -1, vcc
	v_cmp_eq_u32_e32 vcc, s25, v1
	s_nop 1
	v_cndmask_b32_e32 v1, v13, v15, vcc
	v_cmp_ne_u32_e32 vcc, 0, v1
	v_cndmask_b32_e64 v1, v16, v14, s[2:3]
	s_nop 0
	v_cndmask_b32_e32 v5, v5, v9, vcc
	v_cndmask_b32_e32 v4, v4, v1, vcc
.LBB0_4:                                ;   in Loop: Header=BB0_2 Depth=1
	s_andn2_saveexec_b64 s[2:3], s[26:27]
	s_cbranch_execz .LBB0_6
; %bb.5:                                ;   in Loop: Header=BB0_2 Depth=1
	v_cvt_f32_u32_e32 v1, s24
	s_sub_i32 s26, 0, s24
	v_rcp_iflag_f32_e32 v1, v1
	s_nop 0
	v_mul_f32_e32 v1, 0x4f7ffffe, v1
	v_cvt_u32_f32_e32 v1, v1
	v_mul_lo_u32 v4, s26, v1
	v_mul_hi_u32 v4, v1, v4
	v_add_u32_e32 v1, v1, v4
	v_mul_hi_u32 v1, v10, v1
	v_mul_lo_u32 v4, v1, s24
	v_sub_u32_e32 v4, v10, v4
	v_add_u32_e32 v5, 1, v1
	v_subrev_u32_e32 v9, s24, v4
	v_cmp_le_u32_e32 vcc, s24, v4
	s_nop 1
	v_cndmask_b32_e32 v4, v4, v9, vcc
	v_cndmask_b32_e32 v1, v1, v5, vcc
	v_add_u32_e32 v5, 1, v1
	v_cmp_le_u32_e32 vcc, s24, v4
	s_nop 1
	v_cndmask_b32_e32 v4, v1, v5, vcc
	v_mov_b32_e32 v5, v8
.LBB0_6:                                ;   in Loop: Header=BB0_2 Depth=1
	s_or_b64 exec, exec, s[2:3]
	v_mad_u64_u32 v[14:15], s[2:3], v4, s24, 0
	s_load_dwordx2 s[2:3], s[18:19], 0x0
	v_mul_lo_u32 v1, v5, s24
	v_mul_lo_u32 v9, v4, s25
	s_load_dwordx2 s[24:25], s[16:17], 0x0
	s_add_u32 s22, s22, 1
	v_add3_u32 v1, v15, v9, v1
	v_sub_co_u32_e32 v9, vcc, v10, v14
	s_addc_u32 s23, s23, 0
	s_nop 0
	v_subb_co_u32_e32 v1, vcc, v11, v1, vcc
	s_add_u32 s16, s16, 8
	s_waitcnt lgkmcnt(0)
	v_mul_lo_u32 v10, s2, v1
	v_mul_lo_u32 v11, s3, v9
	v_mad_u64_u32 v[6:7], s[2:3], s2, v9, v[6:7]
	s_addc_u32 s17, s17, 0
	v_add3_u32 v7, v11, v7, v10
	v_mul_lo_u32 v1, s24, v1
	v_mul_lo_u32 v10, s25, v9
	v_mad_u64_u32 v[2:3], s[2:3], s24, v9, v[2:3]
	s_add_u32 s18, s18, 8
	v_add3_u32 v3, v10, v3, v1
	s_addc_u32 s19, s19, 0
	v_mov_b64_e32 v[10:11], s[10:11]
	s_add_u32 s20, s20, 8
	v_cmp_ge_u64_e32 vcc, s[22:23], v[10:11]
	s_addc_u32 s21, s21, 0
	s_cbranch_vccnz .LBB0_9
; %bb.7:                                ;   in Loop: Header=BB0_2 Depth=1
	v_mov_b64_e32 v[10:11], v[4:5]
	s_branch .LBB0_2
.LBB0_8:
	v_mov_b64_e32 v[2:3], v[6:7]
	v_mov_b64_e32 v[4:5], v[10:11]
.LBB0_9:
	s_load_dwordx2 s[2:3], s[0:1], 0x28
	s_lshl_b64 s[16:17], s[10:11], 3
	s_add_u32 s6, s6, s16
	s_addc_u32 s7, s7, s17
                                        ; implicit-def: $vgpr48
	s_waitcnt lgkmcnt(0)
	v_cmp_gt_u64_e64 s[0:1], s[2:3], v[4:5]
	v_cmp_le_u64_e32 vcc, s[2:3], v[4:5]
	s_and_saveexec_b64 s[2:3], vcc
	s_xor_b64 s[2:3], exec, s[2:3]
; %bb.10:
	s_mov_b32 s10, 0x4bda130
	v_mul_hi_u32 v1, v0, s10
	v_mul_u32_u24_e32 v1, 54, v1
	v_sub_u32_e32 v48, v0, v1
                                        ; implicit-def: $vgpr0
                                        ; implicit-def: $vgpr6_vgpr7
; %bb.11:
	s_or_saveexec_b64 s[2:3], s[2:3]
	s_load_dwordx2 s[10:11], s[6:7], 0x0
                                        ; implicit-def: $vgpr8
                                        ; implicit-def: $vgpr14
                                        ; implicit-def: $vgpr10
                                        ; implicit-def: $vgpr18
                                        ; implicit-def: $vgpr26
                                        ; implicit-def: $vgpr22
                                        ; implicit-def: $vgpr30
                                        ; implicit-def: $vgpr32
                                        ; implicit-def: $vgpr28
                                        ; implicit-def: $vgpr20
                                        ; implicit-def: $vgpr24
                                        ; implicit-def: $vgpr16
	s_xor_b64 exec, exec, s[2:3]
	s_cbranch_execz .LBB0_15
; %bb.12:
	s_add_u32 s4, s4, s16
	s_addc_u32 s5, s5, s17
	s_load_dwordx2 s[4:5], s[4:5], 0x0
	s_mov_b32 s6, 0x4bda130
                                        ; implicit-def: $vgpr17
                                        ; implicit-def: $vgpr25
                                        ; implicit-def: $vgpr21
	s_waitcnt lgkmcnt(0)
	v_mul_lo_u32 v1, s5, v4
	v_mul_lo_u32 v10, s4, v5
	v_mad_u64_u32 v[8:9], s[4:5], s4, v4, 0
	v_add3_u32 v9, v9, v10, v1
	v_mul_hi_u32 v1, v0, s6
	v_mul_u32_u24_e32 v1, 54, v1
	v_sub_u32_e32 v48, v0, v1
	v_lshl_add_u64 v[0:1], v[8:9], 3, s[12:13]
	v_lshl_add_u64 v[0:1], v[6:7], 3, v[0:1]
	v_lshlrev_b32_e32 v6, 3, v48
	v_mov_b32_e32 v7, 0
	v_lshl_add_u64 v[0:1], v[0:1], 0, v[6:7]
	global_load_dwordx2 v[28:29], v[0:1], off
	global_load_dwordx2 v[22:23], v[0:1], off offset:432
	global_load_dwordx2 v[26:27], v[0:1], off offset:1872
	global_load_dwordx2 v[18:19], v[0:1], off offset:3312
	global_load_dwordx2 v[32:33], v[0:1], off offset:1440
	global_load_dwordx2 v[10:11], v[0:1], off offset:864
	global_load_dwordx2 v[30:31], v[0:1], off offset:2880
	global_load_dwordx2 v[14:15], v[0:1], off offset:2304
	global_load_dwordx2 v[8:9], v[0:1], off offset:3744
	v_cmp_gt_u32_e32 vcc, 18, v48
	s_and_saveexec_b64 s[4:5], vcc
	s_cbranch_execz .LBB0_14
; %bb.13:
	v_add_co_u32_e32 v6, vcc, 0x1000, v0
	s_nop 1
	v_addc_co_u32_e32 v7, vcc, 0, v1, vcc
	global_load_dwordx2 v[16:17], v[0:1], off offset:1296
	global_load_dwordx2 v[24:25], v[0:1], off offset:2736
	;; [unrolled: 1-line block ×3, first 2 shown]
.LBB0_14:
	s_or_b64 exec, exec, s[4:5]
.LBB0_15:
	s_or_b64 exec, exec, s[2:3]
	v_and_b32_e32 v0, 3, v12
	s_waitcnt vmcnt(2)
	v_pk_add_f32 v[46:47], v[30:31], v[32:33]
	v_mul_u32_u24_e32 v50, 0x21c, v0
	v_mul_f32_e32 v1, 0.5, v46
	v_pk_add_f32 v[42:43], v[32:33], v[30:31] neg_lo:[0,1] neg_hi:[0,1]
	v_pk_add_f32 v[44:45], v[18:19], v[26:27]
	s_waitcnt vmcnt(0)
	v_pk_add_f32 v[38:39], v[8:9], v[14:15]
	v_mov_b32_e32 v0, v32
	v_mul_f32_e32 v13, 0x3f5db3d7, v43
	v_mul_f32_e32 v53, 0.5, v44
	v_pk_add_f32 v[36:37], v[26:27], v[18:19] neg_lo:[0,1] neg_hi:[0,1]
	v_mul_f32_e32 v57, 0.5, v38
	v_pk_add_f32 v[34:35], v[20:21], v[24:25]
	v_mov_b32_e32 v44, v16
	v_mad_u32_u24 v38, v48, 12, 0
	v_lshlrev_b32_e32 v49, 2, v50
	v_pk_add_f32 v[40:41], v[28:29], v[32:33]
	v_pk_add_f32 v[60:61], v[28:29], v[0:1] op_sel_hi:[0,1] neg_lo:[0,1] neg_hi:[0,1]
	v_mov_b32_e32 v12, v30
	v_mov_b32_e32 v52, v26
	v_mul_f32_e32 v55, 0x3f5db3d7, v37
	v_fmac_f32_e32 v44, -0.5, v34
	v_add_u32_e32 v34, v38, v49
	v_pk_add_f32 v[0:1], v[40:41], v[30:31]
	v_pk_add_f32 v[12:13], v[60:61], v[12:13] neg_lo:[0,1] neg_hi:[0,1]
	v_pk_add_f32 v[52:53], v[22:23], v[52:53] op_sel_hi:[0,1] neg_lo:[0,1] neg_hi:[0,1]
	v_mov_b32_e32 v54, v18
	ds_write2_b32 v34, v0, v13 offset1:1
	v_pk_add_f32 v[40:41], v[24:25], v[20:21] neg_lo:[0,1] neg_hi:[0,1]
	v_pk_add_f32 v[0:1], v[22:23], v[26:27]
	v_pk_add_f32 v[12:13], v[52:53], v[54:55] neg_lo:[0,1] neg_hi:[0,1]
	v_pk_add_f32 v[0:1], v[0:1], v[18:19]
	v_mul_f32_e32 v12, 0x3f5db3d7, v41
	v_pk_add_f32 v[6:7], v[14:15], v[8:9] neg_lo:[0,1] neg_hi:[0,1]
	ds_write2_b32 v34, v0, v13 offset0:162 offset1:163
	v_pk_add_f32 v[0:1], v[44:45], v[12:13] op_sel_hi:[0,0] neg_lo:[0,1] neg_hi:[0,1]
	v_fmac_f32_e32 v61, 0x3f5db3d7, v43
	v_fmac_f32_e32 v53, 0x3f5db3d7, v37
	v_mov_b32_e32 v56, v14
	v_mul_f32_e32 v59, 0x3f5db3d7, v7
	ds_write2_b32 v34, v61, v53 offset0:2 offset1:164
	v_add_u32_e32 v1, 0x510, v38
	v_pk_add_f32 v[52:53], v[10:11], v[14:15]
	v_pk_add_f32 v[54:55], v[10:11], v[56:57] op_sel_hi:[0,1] neg_lo:[0,1] neg_hi:[0,1]
	v_mov_b32_e32 v58, v8
	v_pk_add_f32 v[12:13], v[44:45], v[12:13] op_sel_hi:[0,0]
	v_add_u32_e32 v26, 0x288, v34
	v_add_u32_e32 v30, v1, v49
	v_pk_add_f32 v[52:53], v[52:53], v[8:9]
	v_pk_add_f32 v[56:57], v[54:55], v[58:59] neg_lo:[0,1] neg_hi:[0,1]
	v_cmp_lt_u32_e64 s[2:3], 17, v48
	v_cmp_gt_u32_e32 vcc, 18, v48
	v_fmac_f32_e32 v55, 0x3f5db3d7, v7
	ds_write2_b32 v30, v52, v57 offset1:1
	ds_write_b32 v30, v55 offset:8
	s_and_saveexec_b64 s[4:5], vcc
	s_cbranch_execz .LBB0_17
; %bb.16:
	v_add_f32_e32 v7, v24, v16
	v_add_f32_e32 v7, v20, v7
	v_lshl_add_u32 v8, v50, 2, v1
	ds_write_b32 v8, v7 offset:648
	v_mov_b32_e32 v1, v13
	ds_write2_b32 v8, v0, v13 offset0:163 offset1:164
.LBB0_17:
	s_or_b64 exec, exec, s[4:5]
	v_mul_f32_e32 v47, 0.5, v47
	v_mov_b32_e32 v46, v33
	v_pk_add_f32 v[32:33], v[28:29], v[46:47] op_sel:[1,0]
	v_pk_add_f32 v[28:29], v[28:29], v[46:47] op_sel:[1,0] neg_lo:[0,1] neg_hi:[0,1]
	v_mul_f32_e32 v47, 0x3f5db3d7, v42
	v_mov_b32_e32 v33, v29
	v_fmac_f32_e32 v29, 0xbf5db3d7, v42
	v_mul_f32_e32 v43, 0.5, v45
	v_mov_b32_e32 v42, v27
	v_pk_add_f32 v[44:45], v[22:23], v[42:43] op_sel:[1,0]
	v_pk_add_f32 v[22:23], v[22:23], v[42:43] op_sel:[1,0] neg_lo:[0,1] neg_hi:[0,1]
	v_mov_b32_e32 v42, v19
	v_mul_f32_e32 v19, 0.5, v39
	v_mov_b32_e32 v18, v15
	v_lshlrev_b32_e32 v1, 2, v48
	v_mov_b32_e32 v45, v23
	v_mul_f32_e32 v43, 0x3f5db3d7, v36
	v_fmac_f32_e32 v23, 0xbf5db3d7, v36
	v_pk_add_f32 v[14:15], v[10:11], v[18:19] op_sel:[1,0]
	v_pk_add_f32 v[36:37], v[10:11], v[18:19] op_sel:[1,0] neg_lo:[0,1] neg_hi:[0,1]
	v_add3_u32 v50, 0, v49, v1
	v_lshlrev_b32_e32 v1, 3, v48
	v_mov_b32_e32 v46, v31
	v_mov_b32_e32 v15, v37
	v_mul_f32_e32 v11, 0x3f5db3d7, v6
	v_fmac_f32_e32 v37, 0xbf5db3d7, v6
	v_mul_f32_e32 v7, 0.5, v35
	v_mov_b32_e32 v6, v25
	v_sub_u32_e32 v1, v38, v1
	v_pk_add_f32 v[32:33], v[46:47], v[32:33]
	v_mov_b32_e32 v10, v9
	v_pk_add_f32 v[8:9], v[16:17], v[6:7] op_sel:[1,0]
	v_pk_add_f32 v[6:7], v[16:17], v[6:7] op_sel:[1,0] neg_lo:[0,1] neg_hi:[0,1]
	v_add_u32_e32 v47, v1, v49
	v_pk_add_f32 v[42:43], v[42:43], v[44:45]
	v_pk_add_f32 v[44:45], v[10:11], v[14:15]
	v_mov_b32_e32 v9, v7
	v_mul_f32_e32 v11, 0x3f5db3d7, v40
	v_mov_b32_e32 v10, v21
	v_add_u32_e32 v1, 0x400, v47
	v_pk_add_f32 v[8:9], v[10:11], v[8:9]
	s_waitcnt lgkmcnt(0)
	s_barrier
	ds_read2_b32 v[18:19], v47 offset0:54 offset1:108
	ds_read2_b32 v[10:11], v47 offset0:162 offset1:216
	;; [unrolled: 1-line block ×4, first 2 shown]
	ds_read_b32 v6, v50
	ds_read_b32 v12, v47 offset:1944
	v_fmac_f32_e32 v7, 0xbf5db3d7, v40
	v_add_u32_e32 v46, 0xa2, v48
	s_waitcnt lgkmcnt(0)
	s_barrier
	ds_write2_b32 v34, v32, v33 offset1:1
	ds_write_b32 v34, v29 offset:8
	ds_write2_b32 v26, v42, v43 offset1:1
	ds_write_b32 v26, v23 offset:8
	;; [unrolled: 2-line block ×3, first 2 shown]
	s_and_saveexec_b64 s[4:5], vcc
	s_cbranch_execz .LBB0_19
; %bb.18:
	v_mul_u32_u24_e32 v20, 12, v46
	v_add3_u32 v20, 0, v20, v49
	ds_write2_b32 v20, v8, v9 offset1:1
	ds_write_b32 v20, v7 offset:8
.LBB0_19:
	s_or_b64 exec, exec, s[4:5]
	s_movk_i32 s4, 0xab
	v_mul_lo_u16_sdwa v8, v48, s4 dst_sel:DWORD dst_unused:UNUSED_PAD src0_sel:BYTE_0 src1_sel:DWORD
	v_lshrrev_b16_e32 v22, 9, v8
	v_mul_lo_u16_e32 v8, 3, v22
	v_sub_u16_e32 v51, v48, v8
	v_mov_b32_e32 v8, 9
	v_mul_u32_u24_sdwa v8, v51, v8 dst_sel:DWORD dst_unused:UNUSED_PAD src0_sel:BYTE_0 src1_sel:DWORD
	v_lshlrev_b32_e32 v8, 3, v8
	s_waitcnt lgkmcnt(0)
	s_barrier
	global_load_dwordx4 v[24:27], v8, s[8:9]
	global_load_dwordx4 v[28:31], v8, s[8:9] offset:16
	global_load_dwordx4 v[32:35], v8, s[8:9] offset:32
	;; [unrolled: 1-line block ×3, first 2 shown]
	global_load_dwordx2 v[20:21], v8, s[8:9] offset:64
	ds_read_b32 v23, v50
	ds_read2_b32 v[40:41], v47 offset0:54 offset1:108
	ds_read2_b32 v[42:43], v47 offset0:162 offset1:216
	;; [unrolled: 1-line block ×4, first 2 shown]
	ds_read_b32 v8, v47 offset:1944
	s_mov_b32 s6, 0x3f737871
	s_mov_b32 s4, 0x3f167918
	;; [unrolled: 1-line block ×6, first 2 shown]
	s_waitcnt lgkmcnt(0)
	s_barrier
	s_waitcnt vmcnt(4)
	v_pk_mul_f32 v[54:55], v[18:19], v[24:25] op_sel_hi:[0,1]
	s_waitcnt vmcnt(3)
	v_pk_mul_f32 v[56:57], v[10:11], v[28:29] op_sel_hi:[0,1]
	;; [unrolled: 2-line block ×5, first 2 shown]
	v_mov_b32_e32 v10, v19
	v_mov_b32_e32 v18, v26
	;; [unrolled: 1-line block ×8, first 2 shown]
	v_pk_fma_f32 v[26:27], v[40:41], v[24:25], v[54:55] op_sel:[0,0,1] op_sel_hi:[0,1,0]
	v_pk_fma_f32 v[24:25], v[40:41], v[24:25], v[54:55] op_sel:[0,0,1] op_sel_hi:[0,1,0] neg_lo:[0,0,1] neg_hi:[0,0,1]
	v_pk_fma_f32 v[34:35], v[42:43], v[28:29], v[56:57] op_sel:[0,0,1] op_sel_hi:[0,1,0]
	v_pk_fma_f32 v[28:29], v[42:43], v[28:29], v[56:57] op_sel:[0,0,1] op_sel_hi:[0,1,0] neg_lo:[0,0,1] neg_hi:[0,0,1]
	;; [unrolled: 2-line block ×5, first 2 shown]
	v_mov_b32_e32 v52, v45
	v_pk_mul_f32 v[44:45], v[14:15], v[38:39]
	v_mov_b32_e32 v57, v55
	v_mov_b32_e32 v37, v33
	;; [unrolled: 1-line block ×3, first 2 shown]
	v_pk_mul_f32 v[40:41], v[10:11], v[30:31]
	v_mov_b32_e32 v25, v27
	v_mov_b32_e32 v29, v35
	;; [unrolled: 1-line block ×3, first 2 shown]
	v_pk_mul_f32 v[34:35], v[52:53], v[38:39]
	v_pk_fma_f32 v[26:27], v[52:53], v[16:17], v[44:45] neg_lo:[0,0,1] neg_hi:[0,0,1]
	v_pk_add_f32 v[44:45], v[56:57], v[36:37]
	v_pk_mul_f32 v[32:33], v[42:43], v[30:31]
	v_pk_fma_f32 v[30:31], v[42:43], v[18:19], v[40:41] neg_lo:[0,0,1] neg_hi:[0,0,1]
	v_pk_add_f32 v[38:39], v[24:25], v[28:29]
	v_pk_add_f32 v[42:43], v[28:29], v[20:21] neg_lo:[0,1] neg_hi:[0,1]
	v_pk_add_f32 v[52:53], v[28:29], v[56:57] neg_lo:[0,1] neg_hi:[0,1]
	v_pk_add_f32 v[58:59], v[28:29], v[20:21]
	v_pk_add_f32 v[60:61], v[56:57], v[28:29] neg_lo:[0,1] neg_hi:[0,1]
	v_pk_fma_f32 v[28:29], v[14:15], v[16:17], v[34:35]
	v_pk_fma_f32 v[14:15], v[44:45], 0.5, v[24:25] op_sel_hi:[1,0,1] neg_lo:[1,0,0] neg_hi:[1,0,0]
	v_pk_add_f32 v[40:41], v[56:57], v[36:37] neg_lo:[0,1] neg_hi:[0,1]
	v_pk_add_f32 v[54:55], v[20:21], v[36:37] neg_lo:[0,1] neg_hi:[0,1]
	v_pk_fma_f32 v[32:33], v[10:11], v[18:19], v[32:33]
	v_pk_add_f32 v[10:11], v[38:39], v[56:57]
	v_pk_fma_f32 v[18:19], v[58:59], 0.5, v[24:25] op_sel_hi:[1,0,1] neg_lo:[1,0,0] neg_hi:[1,0,0]
	v_pk_fma_f32 v[34:35], v[42:43], s[6:7], v[14:15] op_sel:[1,0,0] op_sel_hi:[0,0,1]
	v_pk_fma_f32 v[14:15], v[42:43], s[6:7], v[14:15] op_sel:[1,0,0] op_sel_hi:[0,0,1] neg_lo:[1,0,0] neg_hi:[1,0,0]
	v_pk_add_f32 v[62:63], v[36:37], v[20:21] neg_lo:[0,1] neg_hi:[0,1]
	v_pk_add_f32 v[16:17], v[52:53], v[54:55]
	v_pk_add_f32 v[10:11], v[10:11], v[36:37]
	v_pk_fma_f32 v[36:37], v[40:41], s[6:7], v[18:19] op_sel:[1,0,0] op_sel_hi:[0,0,1] neg_lo:[1,0,0] neg_hi:[1,0,0]
	v_pk_fma_f32 v[18:19], v[40:41], s[6:7], v[18:19] op_sel:[1,0,0] op_sel_hi:[0,0,1]
	v_pk_fma_f32 v[14:15], v[40:41], s[4:5], v[14:15] op_sel:[1,0,0] op_sel_hi:[0,0,1] neg_lo:[1,0,0] neg_hi:[1,0,0]
	v_pk_add_f32 v[38:39], v[60:61], v[62:63]
	v_pk_add_f32 v[24:25], v[10:11], v[20:21]
	v_pk_fma_f32 v[10:11], v[40:41], s[4:5], v[34:35] op_sel:[1,0,0] op_sel_hi:[0,0,1]
	v_pk_fma_f32 v[18:19], v[42:43], s[4:5], v[18:19] op_sel:[1,0,0] op_sel_hi:[0,0,1] neg_lo:[1,0,0] neg_hi:[1,0,0]
	v_pk_fma_f32 v[40:41], v[16:17], s[12:13], v[14:15] op_sel_hi:[1,0,1]
	v_pk_add_f32 v[14:15], v[32:33], v[28:29] op_sel:[1,0] op_sel_hi:[0,1]
	v_pk_fma_f32 v[20:21], v[42:43], s[4:5], v[36:37] op_sel:[1,0,0] op_sel_hi:[0,0,1]
	v_pk_fma_f32 v[36:37], v[16:17], s[12:13], v[10:11] op_sel_hi:[1,0,1]
	v_pk_fma_f32 v[42:43], v[38:39], s[12:13], v[18:19] op_sel_hi:[1,0,1]
	v_pk_add_f32 v[10:11], v[30:31], v[26:27] op_sel:[0,1] op_sel_hi:[1,0] neg_lo:[0,1] neg_hi:[0,1]
	v_pk_fma_f32 v[14:15], v[14:15], 0.5, v[6:7] op_sel_hi:[1,0,0] neg_lo:[1,0,0] neg_hi:[1,0,0]
	v_pk_add_f32 v[16:17], v[32:33], v[32:33] op_sel:[0,1] op_sel_hi:[1,0] neg_lo:[0,1] neg_hi:[0,1]
	v_pk_add_f32 v[18:19], v[28:29], v[28:29] op_sel:[0,1] op_sel_hi:[1,0] neg_lo:[0,1] neg_hi:[0,1]
	v_add_f32_e32 v8, v6, v32
	v_pk_fma_f32 v[34:35], v[38:39], s[12:13], v[20:21] op_sel_hi:[1,0,1]
	v_pk_add_f32 v[16:17], v[16:17], v[18:19] op_sel:[1,0] op_sel_hi:[0,1]
	v_pk_fma_f32 v[18:19], v[10:11], s[6:7], v[14:15] op_sel_hi:[1,0,1]
	v_pk_fma_f32 v[14:15], v[10:11], s[6:7], v[14:15] op_sel_hi:[1,0,1] neg_lo:[1,0,0] neg_hi:[1,0,0]
	v_add_f32_e32 v8, v8, v33
	v_mov_b32_e32 v20, v15
	v_mov_b32_e32 v21, v18
	s_mov_b32 s7, s4
	v_mov_b32_e32 v54, v34
	v_mov_b32_e32 v55, v36
	;; [unrolled: 1-line block ×4, first 2 shown]
	v_add_f32_e32 v8, v8, v28
	v_pk_fma_f32 v[20:21], v[10:11], s[4:5], v[20:21] op_sel_hi:[1,0,1]
	v_mov_b32_e32 v44, v42
	v_mov_b32_e32 v45, v40
	;; [unrolled: 1-line block ×4, first 2 shown]
	v_pk_mul_f32 v[54:55], v[54:55], s[6:7]
	v_pk_fma_f32 v[10:11], v[10:11], s[4:5], v[18:19] op_sel_hi:[1,0,1] neg_lo:[1,0,0] neg_hi:[1,0,0]
	s_movk_i32 s4, 0x78
	v_mov_b32_e32 v18, 2
	v_add_f32_e32 v8, v8, v29
	v_mov_b32_e32 v38, v35
	v_mov_b32_e32 v39, v37
	v_pk_mul_f32 v[44:45], v[44:45], s[6:7]
	v_pk_fma_f32 v[52:53], v[52:53], s[12:13], v[54:55] neg_lo:[0,0,1] neg_hi:[0,0,1]
	v_pk_fma_f32 v[10:11], v[16:17], s[12:13], v[10:11] op_sel_hi:[1,0,1]
	v_mad_u32_u24 v6, v22, s4, 0
	v_lshlrev_b32_sdwa v18, v18, v51 dst_sel:DWORD dst_unused:UNUSED_PAD src0_sel:DWORD src1_sel:BYTE_0
	v_pk_fma_f32 v[20:21], v[16:17], s[12:13], v[20:21] op_sel_hi:[1,0,1]
	v_add_f32_e32 v12, v8, v25
	v_pk_fma_f32 v[38:39], v[38:39], s[16:17], v[44:45] neg_lo:[0,0,1] neg_hi:[0,0,1]
	v_pk_add_f32 v[16:17], v[10:11], v[52:53]
	v_add3_u32 v6, v6, v18, v49
	v_pk_add_f32 v[44:45], v[20:21], v[38:39]
	v_sub_f32_e32 v8, v8, v25
	v_pk_add_f32 v[10:11], v[10:11], v[52:53] neg_lo:[0,1] neg_hi:[0,1]
	v_pk_add_f32 v[14:15], v[20:21], v[38:39] neg_lo:[0,1] neg_hi:[0,1]
	ds_write2_b32 v6, v12, v17 offset1:3
	ds_write2_b32 v6, v16, v44 offset0:6 offset1:9
	ds_write2_b32 v6, v45, v8 offset0:12 offset1:15
	;; [unrolled: 1-line block ×4, first 2 shown]
	s_waitcnt lgkmcnt(0)
	s_barrier
	ds_read2_b32 v[20:21], v47 offset0:90 offset1:180
	ds_read2_b32 v[18:19], v1 offset0:14 offset1:104
	ds_read_b32 v51, v50
	ds_read_b32 v52, v47 offset:1800
	v_mov_b32_e32 v38, v27
	v_mov_b32_e32 v39, v26
	v_cmp_lt_u32_e64 s[4:5], 35, v48
                                        ; implicit-def: $vgpr8
                                        ; implicit-def: $vgpr16_vgpr17
	s_and_saveexec_b64 s[6:7], s[4:5]
	s_xor_b64 s[6:7], exec, s[6:7]
; %bb.20:
	v_mov_b32_e32 v8, v13
	v_mov_b64_e32 v[16:17], v[10:11]
; %bb.21:
	s_or_saveexec_b64 s[6:7], s[6:7]
	v_mov_b32_e32 v44, v41
	v_mov_b32_e32 v45, v40
	;; [unrolled: 1-line block ×5, first 2 shown]
	s_xor_b64 exec, exec, s[6:7]
	s_cbranch_execz .LBB0_23
; %bb.22:
	v_add_u32_e32 v0, 0x400, v47
	ds_read2_b32 v[10:11], v47 offset0:54 offset1:144
	ds_read2_b32 v[0:1], v0 offset0:158 offset1:248
	v_add_u32_e32 v8, 0x200, v47
	ds_read2_b32 v[14:15], v8 offset0:106 offset1:196
	s_waitcnt lgkmcnt(2)
	v_mov_b32_e32 v16, v11
	v_mov_b32_e32 v17, v10
	s_waitcnt lgkmcnt(1)
	v_mov_b32_e32 v8, v1
	v_mov_b32_e32 v11, v10
.LBB0_23:
	s_or_b64 exec, exec, s[6:7]
	s_mov_b32 s7, 0x3f167918
	s_mov_b32 s6, 0x3f4f1bbd
	;; [unrolled: 1-line block ×4, first 2 shown]
	v_pk_mul_f32 v[40:41], v[44:45], s[12:13]
	s_mov_b32 s12, 0x3e9e377a
	s_mov_b32 s13, 0x3f737871
	;; [unrolled: 1-line block ×4, first 2 shown]
	v_pk_mul_f32 v[12:13], v[12:13], s[16:17]
	v_add_f32_e32 v1, v23, v30
	v_pk_fma_f32 v[42:43], v[36:37], s[6:7], v[40:41] neg_lo:[0,0,1] neg_hi:[0,0,1]
	v_pk_fma_f32 v[36:37], v[36:37], s[6:7], v[40:41]
	v_pk_fma_f32 v[40:41], v[34:35], s[12:13], v[12:13] neg_lo:[0,0,1] neg_hi:[0,0,1]
	v_pk_fma_f32 v[12:13], v[34:35], s[12:13], v[12:13]
	v_add_f32_e32 v1, v1, v31
	v_pk_add_f32 v[34:35], v[30:31], v[38:39]
	v_add_f32_e32 v1, v1, v26
	v_mul_f32_e32 v25, 0.5, v35
	v_mov_b32_e32 v26, v30
	v_mov_b32_e32 v38, v31
	v_add_f32_e32 v1, v1, v27
	v_mov_b32_e32 v10, v29
	v_pk_add_f32 v[30:31], v[26:27], v[38:39] neg_lo:[0,1] neg_hi:[0,1]
	v_pk_add_f32 v[26:27], v[38:39], v[26:27] neg_lo:[0,1] neg_hi:[0,1]
	v_mov_b32_e32 v29, v25
	v_pk_add_f32 v[32:33], v[32:33], v[10:11] neg_lo:[0,1] neg_hi:[0,1]
	v_add_f32_e32 v26, v26, v27
	v_mov_b32_e32 v27, v23
	v_pk_add_f32 v[22:23], v[22:23], v[28:29] neg_lo:[0,1] neg_hi:[0,1]
	s_mov_b32 s6, s7
	v_mul_f32_e32 v35, 0x3f737871, v32
	v_fmac_f32_e32 v27, -0.5, v34
	v_mov_b32_e32 v34, 0x3f167918
	v_pk_mul_f32 v[38:39], v[22:23], s[6:7]
	v_add_f32_e32 v10, v30, v31
	v_fmamk_f32 v28, v32, 0x3f737871, v23
	v_pk_add_f32 v[30:31], v[22:23], v[34:35] neg_lo:[0,1] neg_hi:[0,1]
	v_mov_b32_e32 v29, v38
	v_pk_add_f32 v[30:31], v[30:31], v[28:29] neg_lo:[0,1] neg_hi:[0,1]
	v_pk_fma_f32 v[28:29], v[22:23], v[34:35], v[28:29]
	v_mov_b32_e32 v23, v32
	s_mov_b32 s6, s13
	v_mul_f32_e32 v10, 0x3e9e377a, v10
	v_mov_b32_e32 v29, v31
	v_pk_mul_f32 v[22:23], v[22:23], s[6:7]
	v_pk_add_f32 v[28:29], v[10:11], v[28:29] op_sel_hi:[0,1]
	v_sub_f32_e32 v10, v27, v22
	v_add_f32_e32 v30, v23, v10
	v_add_f32_e32 v10, v22, v27
	v_mov_b32_e32 v37, v43
	v_mul_f32_e32 v26, 0x3e9e377a, v26
	v_sub_f32_e32 v31, v10, v23
	v_mov_b32_e32 v13, v41
	v_add_f32_e32 v10, v1, v24
	v_pk_add_f32 v[22:23], v[28:29], v[36:37]
	v_pk_add_f32 v[26:27], v[26:27], v[30:31] op_sel_hi:[0,1]
	v_sub_f32_e32 v1, v1, v24
	v_pk_add_f32 v[30:31], v[26:27], v[12:13]
	v_pk_add_f32 v[24:25], v[26:27], v[12:13] neg_lo:[0,1] neg_hi:[0,1]
	v_pk_add_f32 v[12:13], v[28:29], v[36:37] neg_lo:[0,1] neg_hi:[0,1]
	s_waitcnt lgkmcnt(0)
	s_barrier
	ds_write2_b32 v6, v10, v22 offset1:3
	ds_write2_b32 v6, v30, v31 offset0:6 offset1:9
	ds_write2_b32 v6, v23, v1 offset0:12 offset1:15
	;; [unrolled: 1-line block ×4, first 2 shown]
	v_add_u32_e32 v1, 0x400, v47
	s_waitcnt lgkmcnt(0)
	s_barrier
	ds_read2_b32 v[30:31], v47 offset0:90 offset1:180
	ds_read2_b32 v[28:29], v1 offset0:14 offset1:104
	ds_read_b32 v33, v50
	ds_read_b32 v1, v47 offset:1800
                                        ; implicit-def: $vgpr26_vgpr27
                                        ; implicit-def: $vgpr22_vgpr23
	s_and_saveexec_b64 s[6:7], s[4:5]
	s_xor_b64 s[6:7], exec, s[6:7]
; %bb.24:
	v_mov_b64_e32 v[26:27], v[24:25]
	v_mov_b64_e32 v[22:23], v[12:13]
; %bb.25:
	s_andn2_saveexec_b64 s[6:7], s[6:7]
	s_cbranch_execz .LBB0_27
; %bb.26:
	v_add_u32_e32 v6, 0x200, v47
	ds_read2_b32 v[24:25], v6 offset0:106 offset1:196
	v_add_u32_e32 v6, 0x400, v47
	ds_read2_b32 v[12:13], v47 offset0:54 offset1:144
	ds_read2_b32 v[6:7], v6 offset0:158 offset1:248
	s_waitcnt lgkmcnt(2)
	v_mov_b32_e32 v23, v25
	v_mov_b32_e32 v27, v24
	s_waitcnt lgkmcnt(1)
	v_mov_b32_e32 v22, v12
	v_mov_b32_e32 v26, v13
	;; [unrolled: 1-line block ×3, first 2 shown]
	s_waitcnt lgkmcnt(0)
	v_mov_b32_e32 v9, v6
.LBB0_27:
	s_or_b64 exec, exec, s[6:7]
	v_subrev_u32_e32 v6, 30, v48
	v_cmp_gt_u32_e64 s[6:7], 30, v48
	v_mov_b32_e32 v35, 0
	v_add_u32_e32 v32, 54, v48
	v_cndmask_b32_e64 v66, v6, v48, s[6:7]
	v_mul_i32_i24_e32 v34, 5, v66
	s_movk_i32 s6, 0x89
	v_lshl_add_u64 v[34:35], v[34:35], 3, s[8:9]
	v_mul_lo_u16_sdwa v10, v32, s6 dst_sel:DWORD dst_unused:UNUSED_PAD src0_sel:BYTE_0 src1_sel:DWORD
	global_load_dwordx4 v[36:39], v[34:35], off offset:216
	global_load_dwordx4 v[42:45], v[34:35], off offset:232
	global_load_dwordx2 v[54:55], v[34:35], off offset:248
	v_lshrrev_b16_e32 v34, 12, v10
	v_mul_lo_u16_e32 v10, 30, v34
	v_mov_b32_e32 v6, 5
	v_sub_u16_e32 v35, v32, v10
	v_mul_u32_u24_sdwa v6, v35, v6 dst_sel:DWORD dst_unused:UNUSED_PAD src0_sel:BYTE_0 src1_sel:DWORD
	v_lshlrev_b32_e32 v6, 3, v6
	global_load_dwordx4 v[56:59], v6, s[8:9] offset:216
	global_load_dwordx4 v[60:63], v6, s[8:9] offset:232
	global_load_dwordx2 v[64:65], v6, s[8:9] offset:248
	s_mov_b32 s6, 0x3f5db3d7
	s_waitcnt lgkmcnt(0)
	s_barrier
	s_waitcnt vmcnt(5)
	v_mul_f32_e32 v13, v30, v37
	v_mul_f32_e32 v6, v20, v37
	;; [unrolled: 1-line block ×3, first 2 shown]
	v_fmac_f32_e32 v13, v20, v36
	v_fmac_f32_e32 v37, v21, v38
	v_mul_f32_e32 v10, v21, v39
	s_waitcnt vmcnt(4)
	v_mul_f32_e32 v20, v28, v43
	v_fma_f32 v36, v30, v36, -v6
	v_mul_f32_e32 v6, v18, v43
	s_waitcnt vmcnt(3)
	v_mul_f32_e32 v21, v52, v55
	v_fma_f32 v40, v31, v38, -v10
	v_mul_f32_e32 v39, v29, v45
	v_mul_f32_e32 v10, v19, v45
	;; [unrolled: 1-line block ×3, first 2 shown]
	v_fmac_f32_e32 v20, v18, v42
	v_fma_f32 v38, v28, v42, -v6
	v_fma_f32 v42, v1, v54, -v21
	v_fmac_f32_e32 v39, v19, v44
	v_fma_f32 v43, v29, v44, -v10
	v_fmac_f32_e32 v24, v52, v54
	v_add_f32_e32 v29, v38, v42
	v_add_f32_e32 v1, v51, v37
	;; [unrolled: 1-line block ×5, first 2 shown]
	v_sub_f32_e32 v20, v20, v24
	s_waitcnt vmcnt(2)
	v_mul_f32_e32 v41, v25, v59
	s_waitcnt vmcnt(1)
	v_mul_f32_e32 v21, v9, v63
	v_fma_f32 v44, -0.5, v29, v36
	v_sub_f32_e32 v10, v40, v43
	v_sub_f32_e32 v28, v38, v42
	v_mul_f32_e32 v30, v14, v59
	v_mul_f32_e32 v31, v0, v63
	v_add_f32_e32 v1, v1, v39
	v_fmac_f32_e32 v51, -0.5, v6
	v_add_f32_e32 v6, v18, v24
	v_fmac_f32_e32 v13, -0.5, v19
	v_fmac_f32_e32 v41, v14, v58
	v_fmac_f32_e32 v21, v0, v62
	v_fmamk_f32 v54, v20, 0x3f5db3d7, v44
	v_fmac_f32_e32 v44, 0xbf5db3d7, v20
	v_pk_mul_f32 v[18:19], v[26:27], v[56:57] op_sel_hi:[0,1]
	v_pk_mul_f32 v[26:27], v[14:15], v[60:61] op_sel:[1,0]
	v_fma_f32 v45, v25, v58, -v30
	v_fma_f32 v52, v9, v62, -v31
	v_fmamk_f32 v9, v10, 0xbf5db3d7, v51
	v_fmac_f32_e32 v51, 0x3f5db3d7, v10
	v_fmamk_f32 v53, v28, 0xbf5db3d7, v13
	v_fmac_f32_e32 v13, 0x3f5db3d7, v28
	v_add_f32_e32 v55, v1, v6
	v_sub_f32_e32 v58, v1, v6
	v_mul_f32_e32 v6, 0xbf5db3d7, v54
	v_mul_f32_e32 v10, 0xbf5db3d7, v44
	v_add_f32_e32 v14, v41, v21
	v_pk_fma_f32 v[0:1], v[16:17], v[56:57], v[18:19] op_sel:[0,0,1] op_sel_hi:[1,1,0]
	v_pk_fma_f32 v[16:17], v[16:17], v[56:57], v[18:19] op_sel:[0,0,1] op_sel_hi:[0,1,0] neg_lo:[1,0,0] neg_hi:[1,0,0]
	v_add_f32_e32 v19, v11, v41
	v_sub_f32_e32 v15, v45, v52
	v_fmac_f32_e32 v6, 0.5, v53
	v_fmac_f32_e32 v10, -0.5, v13
	v_fmac_f32_e32 v11, -0.5, v14
	v_add_f32_e32 v16, v9, v6
	v_add_f32_e32 v56, v51, v10
	v_sub_f32_e32 v57, v9, v6
	v_sub_f32_e32 v51, v51, v10
	v_mov_b32_e32 v18, v11
	v_fmac_f32_e32 v11, 0x3f5db3d7, v15
	v_mov_b32_e32 v6, v7
	v_mov_b32_e32 v10, v7
	s_waitcnt vmcnt(0)
	v_pk_mul_f32 v[8:9], v[8:9], v[64:65] op_sel_hi:[0,1]
	v_pk_fma_f32 v[24:25], v[22:23], v[60:61], v[26:27] op_sel:[1,0,1] op_sel_hi:[1,1,0] neg_lo:[0,0,1] neg_hi:[0,0,1]
	v_pk_fma_f32 v[26:27], v[22:23], v[60:61], v[26:27] op_sel:[1,0,1] op_sel_hi:[1,1,0]
	v_pk_fma_f32 v[22:23], v[6:7], v[64:65], v[8:9] op_sel:[0,0,1] op_sel_hi:[1,1,0] neg_lo:[0,0,1] neg_hi:[0,0,1]
	v_pk_fma_f32 v[6:7], v[10:11], v[64:65], v[8:9] op_sel:[0,0,1] op_sel_hi:[0,1,0]
	v_mov_b32_e32 v1, v17
	v_mov_b32_e32 v6, v27
	v_mov_b32_e32 v25, v27
	v_mov_b32_e32 v23, v7
	v_pk_add_f32 v[8:9], v[0:1], v[6:7]
	v_mov_b32_e32 v6, v7
	v_pk_add_f32 v[8:9], v[8:9], v[6:7]
	v_pk_add_f32 v[6:7], v[24:25], v[22:23]
	v_mul_f32_e32 v20, 0x3f5db3d7, v15
	v_pk_mul_f32 v[6:7], v[6:7], 0.5 op_sel_hi:[1,0]
	v_pk_add_f32 v[14:15], v[18:19], v[20:21] neg_lo:[0,1] neg_hi:[0,1]
	v_pk_add_f32 v[0:1], v[0:1], v[6:7] op_sel:[0,1] op_sel_hi:[1,0] neg_lo:[0,1] neg_hi:[0,1]
	v_pk_add_f32 v[6:7], v[24:25], v[22:23] neg_lo:[0,1] neg_hi:[0,1]
	v_pk_add_f32 v[18:19], v[18:19], v[20:21]
	v_pk_fma_f32 v[26:27], v[6:7], s[6:7], v[0:1] op_sel_hi:[1,0,1]
	v_pk_fma_f32 v[28:29], v[6:7], s[6:7], v[0:1] op_sel_hi:[1,0,1] neg_lo:[1,0,0] neg_hi:[1,0,0]
	v_mov_b32_e32 v6, 0x2d0
	v_cmp_lt_u32_e64 s[6:7], 29, v48
	v_mul_f32_e32 v30, 0xbf5db3d7, v27
	v_mov_b32_e32 v15, v19
	v_cndmask_b32_e64 v6, 0, v6, s[6:7]
	v_fmac_f32_e32 v30, 0.5, v28
	v_mul_f32_e32 v10, 0xbf5db3d7, v29
	v_mov_b32_e32 v31, v8
	v_add_u32_e32 v6, 0, v6
	v_lshlrev_b32_e32 v7, 2, v66
	v_fmac_f32_e32 v10, -0.5, v26
	v_pk_add_f32 v[0:1], v[14:15], v[30:31] neg_lo:[0,1] neg_hi:[0,1]
	v_add3_u32 v7, v6, v7, v49
	ds_write2_b32 v7, v55, v16 offset1:30
	ds_write2_b32 v7, v56, v58 offset0:60 offset1:90
	ds_write2_b32 v7, v57, v51 offset0:120 offset1:150
	s_and_saveexec_b64 s[6:7], s[4:5]
	s_xor_b64 s[6:7], exec, s[6:7]
; %bb.28:
                                        ; implicit-def: $vgpr14_vgpr15
                                        ; implicit-def: $vgpr30
                                        ; implicit-def: $vgpr18_vgpr19
                                        ; implicit-def: $vgpr8_vgpr9
; %bb.29:
	s_or_saveexec_b64 s[6:7], s[6:7]
	v_sub_f32_e32 v6, v11, v10
	s_xor_b64 exec, exec, s[6:7]
	s_cbranch_execz .LBB0_31
; %bb.30:
	v_add_f32_e32 v9, v11, v10
	v_add_f32_e32 v10, v14, v30
	s_movk_i32 s12, 0x2d0
	v_mov_b32_e32 v14, 2
	v_mad_u32_u24 v11, v34, s12, 0
	v_lshlrev_b32_sdwa v14, v14, v35 dst_sel:DWORD dst_unused:UNUSED_PAD src0_sel:DWORD src1_sel:BYTE_0
	v_add_f32_e32 v8, v19, v8
	v_add3_u32 v11, v11, v14, v49
	ds_write2_b32 v11, v8, v10 offset1:30
	ds_write2_b32 v11, v9, v1 offset0:60 offset1:90
	ds_write2_b32 v11, v0, v6 offset0:120 offset1:150
.LBB0_31:
	s_or_b64 exec, exec, s[6:7]
	v_add_u32_e32 v10, 0x400, v47
	s_waitcnt lgkmcnt(0)
	s_barrier
	ds_read_b32 v16, v50
	ds_read2_b32 v[18:19], v47 offset0:180 offset1:234
	ds_read2_b32 v[14:15], v10 offset0:32 offset1:104
	;; [unrolled: 1-line block ×4, first 2 shown]
	s_and_saveexec_b64 s[6:7], s[2:3]
	s_xor_b64 s[6:7], exec, s[6:7]
	s_andn2_saveexec_b64 s[6:7], s[6:7]
	s_cbranch_execz .LBB0_33
; %bb.32:
	v_add_u32_e32 v0, 0x200, v47
	ds_read2_b32 v[30:31], v0 offset0:34 offset1:214
	ds_read_b32 v6, v47 offset:2088
	s_waitcnt lgkmcnt(1)
	v_mov_b32_e32 v0, v31
	v_mov_b32_e32 v1, v30
.LBB0_33:
	s_or_b64 exec, exec, s[6:7]
	v_add_f32_e32 v23, v40, v43
	v_add_f32_e32 v20, v33, v40
	v_fmac_f32_e32 v33, -0.5, v23
	v_sub_f32_e32 v23, v37, v39
	v_mul_f32_e32 v31, 0.5, v54
	v_mul_f32_e32 v37, -0.5, v44
	v_fmamk_f32 v25, v23, 0x3f5db3d7, v33
	v_fmac_f32_e32 v31, 0x3f5db3d7, v53
	v_fmac_f32_e32 v37, 0x3f5db3d7, v13
	v_add_f32_e32 v13, v12, v45
	v_add_f32_e32 v30, v36, v38
	;; [unrolled: 1-line block ×3, first 2 shown]
	v_sub_f32_e32 v40, v25, v31
	v_add_f32_e32 v25, v13, v52
	v_add_f32_e32 v13, v45, v52
	;; [unrolled: 1-line block ×4, first 2 shown]
	v_fmac_f32_e32 v12, -0.5, v13
	v_sub_f32_e32 v13, v41, v21
	v_fmamk_f32 v23, v23, 0xbf5db3d7, v33
	v_add_f32_e32 v33, v20, v30
	v_sub_f32_e32 v39, v20, v30
	v_mul_f32_e32 v20, 0x3f5db3d7, v13
	s_mov_b32 s6, 0x3f5db3d7
	v_pk_add_f32 v[30:31], v[12:13], v[20:21] neg_lo:[0,1] neg_hi:[0,1]
	v_pk_add_f32 v[12:13], v[12:13], v[20:21]
	s_mov_b32 s7, 0.5
	v_mov_b32_e32 v31, v12
	v_add_f32_e32 v12, v17, v24
	v_add_f32_e32 v17, v12, v22
	v_pk_mul_f32 v[12:13], v[28:29], s[6:7]
	v_add_f32_e32 v38, v23, v37
	v_sub_f32_e32 v37, v23, v37
	v_pk_fma_f32 v[22:23], v[26:27], s[6:7], v[12:13] op_sel:[0,0,1] op_sel_hi:[1,1,0] neg_lo:[0,0,1] neg_hi:[0,0,1]
	v_pk_fma_f32 v[12:13], v[26:27], s[6:7], v[12:13] op_sel:[0,0,1] op_sel_hi:[1,1,0]
	s_waitcnt lgkmcnt(0)
	v_mov_b32_e32 v23, v13
	v_pk_add_f32 v[12:13], v[30:31], v[22:23] neg_lo:[0,1] neg_hi:[0,1]
	s_barrier
	ds_write2_b32 v7, v33, v36 offset1:30
	ds_write2_b32 v7, v38, v39 offset0:60 offset1:90
	ds_write2_b32 v7, v40, v37 offset0:120 offset1:150
	s_and_saveexec_b64 s[6:7], s[4:5]
	s_xor_b64 s[4:5], exec, s[6:7]
; %bb.34:
                                        ; implicit-def: $vgpr30_vgpr31
                                        ; implicit-def: $vgpr22_vgpr23
                                        ; implicit-def: $vgpr34
                                        ; implicit-def: $vgpr35
                                        ; implicit-def: $vgpr49
; %bb.35:
	s_or_saveexec_b64 s[4:5], s[4:5]
	v_sub_f32_e32 v20, v25, v17
	s_xor_b64 exec, exec, s[4:5]
	s_cbranch_execz .LBB0_37
; %bb.36:
	s_movk_i32 s6, 0x2d0
	v_mov_b32_e32 v21, 2
	v_add_f32_e32 v7, v25, v17
	v_mad_u32_u24 v17, v34, s6, 0
	v_lshlrev_b32_sdwa v21, v21, v35 dst_sel:DWORD dst_unused:UNUSED_PAD src0_sel:DWORD src1_sel:BYTE_0
	v_pk_add_f32 v[22:23], v[30:31], v[22:23]
	v_add3_u32 v17, v17, v21, v49
	ds_write2_b32 v17, v7, v23 offset1:30
	ds_write2_b32 v17, v22, v20 offset0:60 offset1:90
	ds_write2_b32 v17, v13, v12 offset0:120 offset1:150
.LBB0_37:
	s_or_b64 exec, exec, s[4:5]
	v_add_u32_e32 v7, 0x400, v47
	s_waitcnt lgkmcnt(0)
	s_barrier
	ds_read_b32 v17, v50
	ds_read2_b32 v[30:31], v47 offset0:180 offset1:234
	ds_read2_b32 v[28:29], v7 offset0:32 offset1:104
	;; [unrolled: 1-line block ×4, first 2 shown]
	s_and_saveexec_b64 s[4:5], s[2:3]
	s_xor_b64 s[2:3], exec, s[4:5]
	s_cbranch_execnz .LBB0_41
; %bb.38:
	s_andn2_saveexec_b64 s[2:3], s[2:3]
	s_cbranch_execnz .LBB0_42
.LBB0_39:
	s_or_b64 exec, exec, s[2:3]
	s_and_saveexec_b64 s[2:3], s[0:1]
	s_cbranch_execnz .LBB0_43
.LBB0_40:
	s_endpgm
.LBB0_41:
                                        ; implicit-def: $vgpr47
	s_andn2_saveexec_b64 s[2:3], s[2:3]
	s_cbranch_execz .LBB0_39
.LBB0_42:
	v_add_u32_e32 v7, 0x200, v47
	ds_read2_b32 v[20:21], v7 offset0:34 offset1:214
	ds_read_b32 v12, v47 offset:2088
	s_waitcnt lgkmcnt(1)
	v_mov_b32_e32 v13, v21
	s_or_b64 exec, exec, s[2:3]
	s_and_saveexec_b64 s[2:3], s[0:1]
	s_cbranch_execz .LBB0_40
.LBB0_43:
	v_lshlrev_b32_e32 v38, 1, v48
	v_mov_b32_e32 v23, 0
	v_mov_b32_e32 v39, v23
	v_add_u32_e32 v22, 0xd8, v38
	v_lshl_add_u64 v[34:35], v[38:39], 3, s[8:9]
	v_lshl_add_u64 v[42:43], v[22:23], 3, s[8:9]
	v_lshlrev_b32_e32 v22, 1, v32
	global_load_dwordx4 v[34:37], v[34:35], off offset:1416
	v_lshl_add_u64 v[32:33], v[22:23], 3, s[8:9]
	global_load_dwordx4 v[38:41], v[32:33], off offset:1416
	v_mul_lo_u32 v7, s11, v4
	global_load_dwordx4 v[42:45], v[42:43], off offset:1416
	v_mul_lo_u32 v21, s10, v5
	v_mad_u64_u32 v[4:5], s[0:1], s10, v4, 0
	v_lshrrev_b32_e32 v22, 2, v48
	s_mov_b32 s3, 0x16c16c17
	v_mov_b32_e32 v50, v15
	v_mov_b32_e32 v52, v15
	v_add_u32_e32 v15, 54, v48
	s_waitcnt lgkmcnt(2)
	v_mov_b32_e32 v32, v29
	v_mov_b32_e32 v60, v8
	v_add3_u32 v5, v5, v21, v7
	v_mul_hi_u32 v7, v22, s3
	v_lshrrev_b32_e32 v8, 2, v15
	s_movk_i32 s4, 0xb4
	v_mov_b32_e32 v54, v31
	v_lshrrev_b32_e32 v7, 2, v7
	v_lshl_add_u64 v[4:5], v[4:5], 3, s[14:15]
	v_mul_hi_u32 v8, v8, s3
	v_mov_b32_e32 v56, v19
	v_mov_b32_e32 v58, v19
	v_mul_lo_u32 v7, v7, s4
	v_lshl_add_u64 v[2:3], v[2:3], 3, v[4:5]
	v_lshrrev_b32_e32 v5, 2, v8
	v_sub_u32_e32 v4, v48, v7
	v_mul_lo_u32 v7, v5, s4
	s_mov_b32 s2, 0x3f5db3d7
	s_movk_i32 s5, 0x21c
	v_lshlrev_b32_e32 v22, 3, v4
	v_sub_u32_e32 v4, v15, v7
	s_waitcnt lgkmcnt(1)
	v_mov_b32_e32 v61, v24
	v_lshl_add_u64 v[62:63], v[2:3], 0, v[22:23]
	v_mad_u64_u32 v[4:5], s[0:1], v5, s5, v[4:5]
	v_add_u32_e32 v22, 0xb4, v4
	v_mov_b32_e32 v5, v23
	v_lshl_add_u64 v[66:67], v[22:23], 3, v[2:3]
	v_add_u32_e32 v22, 0x168, v4
	v_lshl_add_u64 v[64:65], v[4:5], 3, v[2:3]
	v_lshl_add_u64 v[4:5], v[22:23], 3, v[2:3]
	s_waitcnt lgkmcnt(0)
	v_mov_b32_e32 v8, v27
	v_mov_b32_e32 v24, v9
	s_waitcnt vmcnt(2)
	v_pk_mul_f32 v[30:31], v[30:31], v[34:35] op_sel_hi:[0,1]
	v_pk_mul_f32 v[32:33], v[32:33], v[36:37] op_sel_hi:[0,1]
	v_pk_fma_f32 v[68:69], v[18:19], v[34:35], v[30:31] op_sel:[0,0,1] op_sel_hi:[1,1,0]
	v_pk_fma_f32 v[18:19], v[18:19], v[34:35], v[30:31] op_sel:[0,0,1] op_sel_hi:[0,1,0] neg_lo:[1,0,0] neg_hi:[1,0,0]
	v_pk_fma_f32 v[30:31], v[50:51], v[36:37], v[32:33] op_sel:[0,0,1] op_sel_hi:[1,1,0]
	v_pk_fma_f32 v[32:33], v[52:53], v[36:37], v[32:33] op_sel:[0,0,1] op_sel_hi:[0,1,0] neg_lo:[1,0,0] neg_hi:[1,0,0]
	s_waitcnt vmcnt(1)
	v_pk_mul_f32 v[34:35], v[54:55], v[38:39] op_sel_hi:[0,1]
	v_pk_mul_f32 v[36:37], v[26:27], v[40:41] op_sel_hi:[0,1]
	v_mov_b32_e32 v69, v19
	v_mov_b32_e32 v31, v33
	v_pk_fma_f32 v[18:19], v[56:57], v[38:39], v[34:35] op_sel:[0,0,1] op_sel_hi:[1,1,0]
	v_pk_fma_f32 v[32:33], v[58:59], v[38:39], v[34:35] op_sel:[0,0,1] op_sel_hi:[0,1,0] neg_lo:[1,0,0] neg_hi:[1,0,0]
	v_pk_fma_f32 v[34:35], v[10:11], v[40:41], v[36:37] op_sel:[0,0,1] op_sel_hi:[1,1,0]
	v_pk_fma_f32 v[36:37], v[10:11], v[40:41], v[36:37] op_sel:[0,0,1] op_sel_hi:[0,1,0] neg_lo:[1,0,0] neg_hi:[1,0,0]
	v_pk_add_f32 v[38:39], v[16:17], v[68:69]
	v_pk_add_f32 v[40:41], v[68:69], v[30:31]
	v_pk_add_f32 v[50:51], v[68:69], v[30:31] neg_lo:[0,1] neg_hi:[0,1]
	v_mov_b32_e32 v19, v33
	v_mov_b32_e32 v35, v37
	v_pk_add_f32 v[30:31], v[38:39], v[30:31]
	v_pk_fma_f32 v[16:17], v[40:41], 0.5, v[16:17] op_sel_hi:[1,0,1] neg_lo:[1,0,0] neg_hi:[1,0,0]
	v_pk_mul_f32 v[32:33], v[50:51], s[2:3] op_sel_hi:[1,0]
	v_pk_add_f32 v[36:37], v[18:19], v[34:35]
	v_pk_add_f32 v[38:39], v[18:19], v[34:35] neg_lo:[0,1] neg_hi:[0,1]
	v_pk_add_f32 v[18:19], v[60:61], v[18:19]
	global_store_dwordx2 v[62:63], v[30:31], off
	v_pk_add_f32 v[30:31], v[16:17], v[32:33] op_sel:[0,1] op_sel_hi:[1,0] neg_lo:[0,1] neg_hi:[0,1]
	v_pk_add_f32 v[16:17], v[16:17], v[32:33] op_sel:[0,1] op_sel_hi:[1,0]
	v_pk_fma_f32 v[32:33], v[36:37], 0.5, v[60:61] op_sel_hi:[1,0,1] neg_lo:[1,0,0] neg_hi:[1,0,0]
	v_pk_mul_f32 v[36:37], v[38:39], s[2:3] op_sel_hi:[1,0]
	v_pk_add_f32 v[18:19], v[18:19], v[34:35]
	v_mov_b32_e32 v34, v30
	v_mov_b32_e32 v35, v17
	;; [unrolled: 1-line block ×3, first 2 shown]
	v_pk_add_f32 v[30:31], v[32:33], v[36:37] op_sel:[0,1] op_sel_hi:[1,0]
	v_pk_add_f32 v[32:33], v[32:33], v[36:37] op_sel:[0,1] op_sel_hi:[1,0] neg_lo:[0,1] neg_hi:[0,1]
	global_store_dwordx2 v[62:63], v[34:35], off offset:1440
	global_store_dwordx2 v[62:63], v[16:17], off offset:2880
	global_store_dwordx2 v[64:65], v[18:19], off
	v_mov_b32_e32 v17, v31
	v_mov_b32_e32 v31, v33
	s_waitcnt vmcnt(4)
	v_pk_mul_f32 v[28:29], v[28:29], v[42:43] op_sel_hi:[0,1]
	global_store_dwordx2 v[4:5], v[30:31], off
	v_add_u32_e32 v4, 0x6c, v48
	v_pk_fma_f32 v[30:31], v[14:15], v[42:43], v[28:29] op_sel:[0,0,1] op_sel_hi:[1,1,0]
	v_pk_fma_f32 v[14:15], v[14:15], v[42:43], v[28:29] op_sel:[0,0,1] op_sel_hi:[0,1,0] neg_lo:[1,0,0] neg_hi:[1,0,0]
	v_lshrrev_b32_e32 v5, 2, v4
	v_mov_b32_e32 v31, v15
	v_pk_mul_f32 v[14:15], v[8:9], v[44:45] op_sel_hi:[0,1]
	v_mov_b32_e32 v8, v11
	v_mul_hi_u32 v5, v5, s3
	v_pk_fma_f32 v[26:27], v[8:9], v[44:45], v[14:15] op_sel:[0,0,1] op_sel_hi:[1,1,0]
	v_pk_fma_f32 v[10:11], v[8:9], v[44:45], v[14:15] op_sel:[0,0,1] op_sel_hi:[0,1,0] neg_lo:[1,0,0] neg_hi:[1,0,0]
	v_lshrrev_b32_e32 v5, 2, v5
	v_mov_b32_e32 v27, v11
	v_mul_lo_u32 v7, v5, s4
	v_pk_add_f32 v[10:11], v[30:31], v[26:27]
	v_sub_u32_e32 v4, v4, v7
	v_pk_fma_f32 v[8:9], v[10:11], 0.5, v[24:25] op_sel_hi:[1,0,1] neg_lo:[1,0,0] neg_hi:[1,0,0]
	v_pk_add_f32 v[10:11], v[30:31], v[26:27] neg_lo:[0,1] neg_hi:[0,1]
	v_mad_u64_u32 v[4:5], s[0:1], v5, s5, v[4:5]
	v_pk_mul_f32 v[10:11], v[10:11], s[2:3] op_sel_hi:[1,0]
	v_mov_b32_e32 v16, v32
	v_mov_b32_e32 v5, v23
	v_add_u32_e32 v22, 0xb4, v4
	v_pk_add_f32 v[14:15], v[8:9], v[10:11] op_sel:[0,1] op_sel_hi:[1,0]
	v_pk_add_f32 v[8:9], v[8:9], v[10:11] op_sel:[0,1] op_sel_hi:[1,0] neg_lo:[0,1] neg_hi:[0,1]
	v_pk_add_f32 v[10:11], v[24:25], v[30:31]
	global_store_dwordx2 v[66:67], v[16:17], off
	v_lshl_add_u64 v[16:17], v[4:5], 3, v[2:3]
	v_lshl_add_u64 v[18:19], v[22:23], 3, v[2:3]
	v_add_u32_e32 v22, 0x168, v4
	v_pk_add_f32 v[10:11], v[10:11], v[26:27]
	v_lshl_add_u64 v[4:5], v[22:23], 3, v[2:3]
	global_store_dwordx2 v[16:17], v[10:11], off
	v_mov_b32_e32 v11, v15
	v_mov_b32_e32 v15, v9
	global_store_dwordx2 v[4:5], v[14:15], off
	v_add_u32_e32 v4, 0xa2, v48
	v_mov_b32_e32 v10, v8
	v_cmp_gt_u32_e64 s[0:1], s4, v4
	global_store_dwordx2 v[18:19], v[10:11], off
	s_and_b64 exec, exec, s[0:1]
	s_cbranch_execz .LBB0_40
; %bb.44:
	v_subrev_u32_e32 v5, 18, v48
	v_cndmask_b32_e32 v5, v5, v46, vcc
	v_lshlrev_b32_e32 v22, 1, v5
	v_lshl_add_u64 v[8:9], v[22:23], 3, s[8:9]
	global_load_dwordx4 v[8:11], v[8:9], off offset:1416
	v_mov_b32_e32 v14, v1
	v_mov_b32_e32 v15, v20
	;; [unrolled: 1-line block ×3, first 2 shown]
	v_lshl_add_u64 v[4:5], v[4:5], 3, v[2:3]
	v_add_u32_e32 v22, 0x156, v48
	v_lshl_add_u64 v[16:17], v[22:23], 3, v[2:3]
	v_add_u32_e32 v22, 0x20a, v48
	v_lshl_add_u64 v[2:3], v[22:23], 3, v[2:3]
	s_waitcnt vmcnt(0)
	v_pk_mul_f32 v[18:19], v[12:13], v[8:9] op_sel:[1,0]
	v_pk_mul_f32 v[12:13], v[12:13], v[10:11] op_sel_hi:[0,1]
	v_pk_fma_f32 v[20:21], v[0:1], v[8:9], v[18:19] op_sel:[0,0,1] op_sel_hi:[1,1,0]
	v_pk_fma_f32 v[0:1], v[0:1], v[8:9], v[18:19] op_sel:[0,0,1] op_sel_hi:[0,1,0] neg_lo:[1,0,0] neg_hi:[1,0,0]
	v_pk_fma_f32 v[8:9], v[6:7], v[10:11], v[12:13] op_sel:[0,0,1] op_sel_hi:[1,1,0]
	v_pk_fma_f32 v[6:7], v[6:7], v[10:11], v[12:13] op_sel:[0,0,1] op_sel_hi:[0,1,0] neg_lo:[1,0,0] neg_hi:[1,0,0]
	v_mov_b32_e32 v21, v1
	v_mov_b32_e32 v9, v7
	v_pk_add_f32 v[0:1], v[20:21], v[8:9]
	v_pk_add_f32 v[6:7], v[20:21], v[8:9] neg_lo:[0,1] neg_hi:[0,1]
	v_pk_add_f32 v[10:11], v[14:15], v[20:21]
	v_pk_fma_f32 v[0:1], -0.5, v[0:1], v[14:15] op_sel_hi:[0,1,1]
	v_pk_mul_f32 v[6:7], v[6:7], s[2:3] op_sel_hi:[1,0]
	v_pk_add_f32 v[8:9], v[10:11], v[8:9]
	v_pk_add_f32 v[10:11], v[0:1], v[6:7] op_sel:[0,1] op_sel_hi:[1,0] neg_lo:[0,1] neg_hi:[0,1]
	v_pk_add_f32 v[0:1], v[0:1], v[6:7] op_sel:[0,1] op_sel_hi:[1,0]
	global_store_dwordx2 v[4:5], v[8:9], off
	v_mov_b32_e32 v4, v10
	v_mov_b32_e32 v5, v1
	;; [unrolled: 1-line block ×3, first 2 shown]
	global_store_dwordx2 v[16:17], v[4:5], off
	global_store_dwordx2 v[2:3], v[0:1], off
	s_endpgm
	.section	.rodata,"a",@progbits
	.p2align	6, 0x0
	.amdhsa_kernel fft_rtc_back_len540_factors_3_10_6_3_wgs_216_tpt_54_halfLds_sp_op_CI_CI_unitstride_sbrr_dirReg
		.amdhsa_group_segment_fixed_size 0
		.amdhsa_private_segment_fixed_size 0
		.amdhsa_kernarg_size 104
		.amdhsa_user_sgpr_count 2
		.amdhsa_user_sgpr_dispatch_ptr 0
		.amdhsa_user_sgpr_queue_ptr 0
		.amdhsa_user_sgpr_kernarg_segment_ptr 1
		.amdhsa_user_sgpr_dispatch_id 0
		.amdhsa_user_sgpr_kernarg_preload_length 0
		.amdhsa_user_sgpr_kernarg_preload_offset 0
		.amdhsa_user_sgpr_private_segment_size 0
		.amdhsa_uses_dynamic_stack 0
		.amdhsa_enable_private_segment 0
		.amdhsa_system_sgpr_workgroup_id_x 1
		.amdhsa_system_sgpr_workgroup_id_y 0
		.amdhsa_system_sgpr_workgroup_id_z 0
		.amdhsa_system_sgpr_workgroup_info 0
		.amdhsa_system_vgpr_workitem_id 0
		.amdhsa_next_free_vgpr 70
		.amdhsa_next_free_sgpr 28
		.amdhsa_accum_offset 72
		.amdhsa_reserve_vcc 1
		.amdhsa_float_round_mode_32 0
		.amdhsa_float_round_mode_16_64 0
		.amdhsa_float_denorm_mode_32 3
		.amdhsa_float_denorm_mode_16_64 3
		.amdhsa_dx10_clamp 1
		.amdhsa_ieee_mode 1
		.amdhsa_fp16_overflow 0
		.amdhsa_tg_split 0
		.amdhsa_exception_fp_ieee_invalid_op 0
		.amdhsa_exception_fp_denorm_src 0
		.amdhsa_exception_fp_ieee_div_zero 0
		.amdhsa_exception_fp_ieee_overflow 0
		.amdhsa_exception_fp_ieee_underflow 0
		.amdhsa_exception_fp_ieee_inexact 0
		.amdhsa_exception_int_div_zero 0
	.end_amdhsa_kernel
	.text
.Lfunc_end0:
	.size	fft_rtc_back_len540_factors_3_10_6_3_wgs_216_tpt_54_halfLds_sp_op_CI_CI_unitstride_sbrr_dirReg, .Lfunc_end0-fft_rtc_back_len540_factors_3_10_6_3_wgs_216_tpt_54_halfLds_sp_op_CI_CI_unitstride_sbrr_dirReg
                                        ; -- End function
	.section	.AMDGPU.csdata,"",@progbits
; Kernel info:
; codeLenInByte = 6672
; NumSgprs: 34
; NumVgprs: 70
; NumAgprs: 0
; TotalNumVgprs: 70
; ScratchSize: 0
; MemoryBound: 0
; FloatMode: 240
; IeeeMode: 1
; LDSByteSize: 0 bytes/workgroup (compile time only)
; SGPRBlocks: 4
; VGPRBlocks: 8
; NumSGPRsForWavesPerEU: 34
; NumVGPRsForWavesPerEU: 70
; AccumOffset: 72
; Occupancy: 7
; WaveLimiterHint : 1
; COMPUTE_PGM_RSRC2:SCRATCH_EN: 0
; COMPUTE_PGM_RSRC2:USER_SGPR: 2
; COMPUTE_PGM_RSRC2:TRAP_HANDLER: 0
; COMPUTE_PGM_RSRC2:TGID_X_EN: 1
; COMPUTE_PGM_RSRC2:TGID_Y_EN: 0
; COMPUTE_PGM_RSRC2:TGID_Z_EN: 0
; COMPUTE_PGM_RSRC2:TIDIG_COMP_CNT: 0
; COMPUTE_PGM_RSRC3_GFX90A:ACCUM_OFFSET: 17
; COMPUTE_PGM_RSRC3_GFX90A:TG_SPLIT: 0
	.text
	.p2alignl 6, 3212836864
	.fill 256, 4, 3212836864
	.type	__hip_cuid_8f1eb38a1c2e0382,@object ; @__hip_cuid_8f1eb38a1c2e0382
	.section	.bss,"aw",@nobits
	.globl	__hip_cuid_8f1eb38a1c2e0382
__hip_cuid_8f1eb38a1c2e0382:
	.byte	0                               ; 0x0
	.size	__hip_cuid_8f1eb38a1c2e0382, 1

	.ident	"AMD clang version 19.0.0git (https://github.com/RadeonOpenCompute/llvm-project roc-6.4.0 25133 c7fe45cf4b819c5991fe208aaa96edf142730f1d)"
	.section	".note.GNU-stack","",@progbits
	.addrsig
	.addrsig_sym __hip_cuid_8f1eb38a1c2e0382
	.amdgpu_metadata
---
amdhsa.kernels:
  - .agpr_count:     0
    .args:
      - .actual_access:  read_only
        .address_space:  global
        .offset:         0
        .size:           8
        .value_kind:     global_buffer
      - .offset:         8
        .size:           8
        .value_kind:     by_value
      - .actual_access:  read_only
        .address_space:  global
        .offset:         16
        .size:           8
        .value_kind:     global_buffer
      - .actual_access:  read_only
        .address_space:  global
        .offset:         24
        .size:           8
        .value_kind:     global_buffer
      - .actual_access:  read_only
        .address_space:  global
        .offset:         32
        .size:           8
        .value_kind:     global_buffer
      - .offset:         40
        .size:           8
        .value_kind:     by_value
      - .actual_access:  read_only
        .address_space:  global
        .offset:         48
        .size:           8
        .value_kind:     global_buffer
      - .actual_access:  read_only
        .address_space:  global
        .offset:         56
        .size:           8
        .value_kind:     global_buffer
      - .offset:         64
        .size:           4
        .value_kind:     by_value
      - .actual_access:  read_only
        .address_space:  global
        .offset:         72
        .size:           8
        .value_kind:     global_buffer
      - .actual_access:  read_only
        .address_space:  global
        .offset:         80
        .size:           8
        .value_kind:     global_buffer
      - .actual_access:  read_only
        .address_space:  global
        .offset:         88
        .size:           8
        .value_kind:     global_buffer
      - .actual_access:  write_only
        .address_space:  global
        .offset:         96
        .size:           8
        .value_kind:     global_buffer
    .group_segment_fixed_size: 0
    .kernarg_segment_align: 8
    .kernarg_segment_size: 104
    .language:       OpenCL C
    .language_version:
      - 2
      - 0
    .max_flat_workgroup_size: 216
    .name:           fft_rtc_back_len540_factors_3_10_6_3_wgs_216_tpt_54_halfLds_sp_op_CI_CI_unitstride_sbrr_dirReg
    .private_segment_fixed_size: 0
    .sgpr_count:     34
    .sgpr_spill_count: 0
    .symbol:         fft_rtc_back_len540_factors_3_10_6_3_wgs_216_tpt_54_halfLds_sp_op_CI_CI_unitstride_sbrr_dirReg.kd
    .uniform_work_group_size: 1
    .uses_dynamic_stack: false
    .vgpr_count:     70
    .vgpr_spill_count: 0
    .wavefront_size: 64
amdhsa.target:   amdgcn-amd-amdhsa--gfx950
amdhsa.version:
  - 1
  - 2
...

	.end_amdgpu_metadata
